;; amdgpu-corpus repo=ROCm/rocFFT kind=compiled arch=gfx906 opt=O3
	.text
	.amdgcn_target "amdgcn-amd-amdhsa--gfx906"
	.amdhsa_code_object_version 6
	.protected	fft_rtc_fwd_len96_factors_4_3_8_wgs_128_tpt_8_dim1_sp_op_CI_CI_unitstride_sbrr_C2R_dirReg ; -- Begin function fft_rtc_fwd_len96_factors_4_3_8_wgs_128_tpt_8_dim1_sp_op_CI_CI_unitstride_sbrr_C2R_dirReg
	.globl	fft_rtc_fwd_len96_factors_4_3_8_wgs_128_tpt_8_dim1_sp_op_CI_CI_unitstride_sbrr_C2R_dirReg
	.p2align	8
	.type	fft_rtc_fwd_len96_factors_4_3_8_wgs_128_tpt_8_dim1_sp_op_CI_CI_unitstride_sbrr_C2R_dirReg,@function
fft_rtc_fwd_len96_factors_4_3_8_wgs_128_tpt_8_dim1_sp_op_CI_CI_unitstride_sbrr_C2R_dirReg: ; @fft_rtc_fwd_len96_factors_4_3_8_wgs_128_tpt_8_dim1_sp_op_CI_CI_unitstride_sbrr_C2R_dirReg
; %bb.0:
	s_load_dwordx4 s[8:11], s[4:5], 0x18
	v_lshrrev_b32_e32 v1, 3, v0
	v_lshl_or_b32 v32, s6, 4, v1
	v_mov_b32_e32 v33, 0
	v_and_b32_e32 v30, 7, v0
	s_waitcnt lgkmcnt(0)
	v_cmp_gt_u64_e32 vcc, s[10:11], v[32:33]
	v_cmp_le_u64_e64 s[0:1], s[10:11], v[32:33]
	s_and_saveexec_b64 s[2:3], s[0:1]
	s_xor_b64 s[0:1], exec, s[2:3]
; %bb.1:
	v_and_b32_e32 v30, 7, v0
; %bb.2:
	s_or_saveexec_b64 s[2:3], s[0:1]
	s_load_dwordx2 s[10:11], s[4:5], 0x0
	s_load_dwordx2 s[6:7], s[8:9], 0x8
	v_mul_u32_u24_e32 v3, 0x61, v1
	v_lshlrev_b32_e32 v8, 3, v3
	s_xor_b64 exec, exec, s[2:3]
	s_cbranch_execz .LBB0_6
; %bb.3:
	s_load_dwordx2 s[0:1], s[4:5], 0x10
	s_load_dwordx2 s[8:9], s[4:5], 0x50
	v_lshlrev_b32_e32 v29, 3, v30
	s_waitcnt lgkmcnt(0)
	s_load_dwordx2 s[0:1], s[0:1], 0x8
	s_waitcnt lgkmcnt(0)
	v_mad_u64_u32 v[1:2], s[12:13], s0, v32, 0
	v_mad_u64_u32 v[4:5], s[0:1], s1, v32, v[2:3]
	v_mov_b32_e32 v5, s9
	v_mov_b32_e32 v2, v4
	v_lshlrev_b64 v[1:2], 3, v[1:2]
	v_add_co_u32_e64 v1, s[0:1], s8, v1
	v_addc_co_u32_e64 v2, s[0:1], v5, v2, s[0:1]
	v_add_co_u32_e64 v4, s[0:1], v1, v29
	v_addc_co_u32_e64 v5, s[0:1], 0, v2, s[0:1]
	global_load_dwordx2 v[6:7], v[4:5], off
	global_load_dwordx2 v[9:10], v[4:5], off offset:64
	global_load_dwordx2 v[11:12], v[4:5], off offset:128
	;; [unrolled: 1-line block ×11, first 2 shown]
	v_add3_u32 v4, 0, v8, v29
	v_cmp_eq_u32_e64 s[0:1], 7, v30
	s_waitcnt vmcnt(10)
	ds_write2_b64 v4, v[6:7], v[9:10] offset1:8
	s_waitcnt vmcnt(8)
	ds_write2_b64 v4, v[11:12], v[13:14] offset0:16 offset1:24
	s_waitcnt vmcnt(6)
	ds_write2_b64 v4, v[15:16], v[17:18] offset0:32 offset1:40
	;; [unrolled: 2-line block ×5, first 2 shown]
	s_and_saveexec_b64 s[8:9], s[0:1]
	s_cbranch_execz .LBB0_5
; %bb.4:
	global_load_dwordx2 v[1:2], v[1:2], off offset:768
	v_mov_b32_e32 v30, 7
	s_waitcnt vmcnt(0)
	ds_write_b64 v4, v[1:2] offset:712
.LBB0_5:
	s_or_b64 exec, exec, s[8:9]
.LBB0_6:
	s_or_b64 exec, exec, s[2:3]
	v_lshl_add_u32 v37, v3, 3, 0
	v_lshlrev_b32_e32 v6, 3, v30
	v_add_u32_e32 v9, v37, v6
	s_waitcnt lgkmcnt(0)
	s_barrier
	v_sub_u32_e32 v5, v37, v6
	ds_read_b32 v7, v9
	ds_read_b32 v10, v5 offset:768
	v_cmp_ne_u32_e64 s[0:1], 0, v30
                                        ; implicit-def: $vgpr3_vgpr4
	s_waitcnt lgkmcnt(0)
	v_add_f32_e32 v1, v10, v7
	v_sub_f32_e32 v2, v7, v10
	s_and_saveexec_b64 s[2:3], s[0:1]
	s_xor_b64 s[2:3], exec, s[2:3]
	s_cbranch_execz .LBB0_8
; %bb.7:
	v_mov_b32_e32 v31, 0
	v_lshlrev_b64 v[1:2], 3, v[30:31]
	v_mov_b32_e32 v3, s11
	v_add_co_u32_e64 v1, s[0:1], s10, v1
	v_addc_co_u32_e64 v2, s[0:1], v3, v2, s[0:1]
	global_load_dwordx2 v[3:4], v[1:2], off offset:736
	ds_read_b32 v1, v5 offset:772
	ds_read_b32 v2, v9 offset:4
	v_add_f32_e32 v11, v10, v7
	v_sub_f32_e32 v7, v7, v10
	s_waitcnt lgkmcnt(0)
	v_add_f32_e32 v12, v1, v2
	v_sub_f32_e32 v1, v2, v1
	s_waitcnt vmcnt(0)
	v_fma_f32 v13, v7, v4, v11
	v_fma_f32 v2, v12, v4, v1
	v_fma_f32 v10, -v7, v4, v11
	v_fma_f32 v11, v12, v4, -v1
	v_fma_f32 v1, -v3, v12, v13
	v_fmac_f32_e32 v2, v7, v3
	v_fmac_f32_e32 v10, v3, v12
	;; [unrolled: 1-line block ×3, first 2 shown]
	v_mov_b32_e32 v3, v30
	ds_write_b64 v5, v[10:11] offset:768
	v_mov_b32_e32 v4, v31
.LBB0_8:
	s_andn2_saveexec_b64 s[0:1], s[2:3]
	s_cbranch_execz .LBB0_10
; %bb.9:
	ds_read_b64 v[3:4], v37 offset:384
	s_waitcnt lgkmcnt(0)
	v_add_f32_e32 v10, v3, v3
	v_mul_f32_e32 v11, -2.0, v4
	v_mov_b32_e32 v3, 0
	v_mov_b32_e32 v4, 0
	ds_write_b64 v37, v[10:11] offset:384
.LBB0_10:
	s_or_b64 exec, exec, s[0:1]
	s_add_u32 s0, s10, 0x2e0
	v_lshlrev_b64 v[3:4], 3, v[3:4]
	s_addc_u32 s1, s11, 0
	v_mov_b32_e32 v7, s1
	v_add_co_u32_e64 v3, s[0:1], s0, v3
	v_addc_co_u32_e64 v4, s[0:1], v7, v4, s[0:1]
	global_load_dwordx2 v[10:11], v[3:4], off offset:64
	global_load_dwordx2 v[12:13], v[3:4], off offset:128
	;; [unrolled: 1-line block ×4, first 2 shown]
	ds_write_b64 v9, v[1:2]
	ds_read_b64 v[1:2], v9 offset:64
	ds_read_b64 v[18:19], v5 offset:704
	global_load_dwordx2 v[3:4], v[3:4], off offset:320
	v_add3_u32 v31, 0, v6, v8
	v_mad_u32_u24 v28, v30, 24, v31
	v_or_b32_e32 v38, 8, v30
	s_waitcnt lgkmcnt(0)
	v_add_f32_e32 v7, v1, v18
	v_add_f32_e32 v20, v19, v2
	v_sub_f32_e32 v21, v1, v18
	v_sub_f32_e32 v1, v2, v19
	v_cmp_gt_u32_e64 s[0:1], 4, v30
	s_waitcnt vmcnt(4)
	v_fma_f32 v22, v21, v11, v7
	v_fma_f32 v2, v20, v11, v1
	v_fma_f32 v18, -v21, v11, v7
	v_fma_f32 v19, v20, v11, -v1
	v_fma_f32 v1, -v10, v20, v22
	v_fmac_f32_e32 v2, v21, v10
	v_fmac_f32_e32 v18, v10, v20
	v_fmac_f32_e32 v19, v21, v10
	ds_write_b64 v9, v[1:2] offset:64
	ds_write_b64 v5, v[18:19] offset:704
	ds_read_b64 v[1:2], v9 offset:128
	ds_read_b64 v[10:11], v5 offset:640
	s_waitcnt lgkmcnt(0)
	v_add_f32_e32 v7, v1, v10
	v_add_f32_e32 v18, v11, v2
	v_sub_f32_e32 v19, v1, v10
	v_sub_f32_e32 v1, v2, v11
	s_waitcnt vmcnt(3)
	v_fma_f32 v20, v19, v13, v7
	v_fma_f32 v2, v18, v13, v1
	v_fma_f32 v10, -v19, v13, v7
	v_fma_f32 v11, v18, v13, -v1
	v_fma_f32 v1, -v12, v18, v20
	v_fmac_f32_e32 v2, v19, v12
	v_fmac_f32_e32 v10, v12, v18
	v_fmac_f32_e32 v11, v19, v12
	ds_write_b64 v9, v[1:2] offset:128
	ds_write_b64 v5, v[10:11] offset:640
	ds_read_b64 v[1:2], v9 offset:192
	ds_read_b64 v[10:11], v5 offset:576
	s_waitcnt lgkmcnt(0)
	v_add_f32_e32 v7, v1, v10
	v_add_f32_e32 v12, v11, v2
	v_sub_f32_e32 v13, v1, v10
	v_sub_f32_e32 v1, v2, v11
	;; [unrolled: 18-line block ×4, first 2 shown]
	s_waitcnt vmcnt(0)
	v_fma_f32 v11, v10, v4, v6
	v_fma_f32 v2, v12, v4, v1
	v_fma_f32 v6, -v10, v4, v6
	v_fma_f32 v7, v12, v4, -v1
	v_fma_f32 v1, -v3, v12, v11
	v_fmac_f32_e32 v2, v10, v3
	v_fmac_f32_e32 v6, v3, v12
	;; [unrolled: 1-line block ×3, first 2 shown]
	ds_write_b64 v9, v[1:2] offset:320
	ds_write_b64 v5, v[6:7] offset:448
	s_waitcnt lgkmcnt(0)
	s_barrier
	s_barrier
	ds_read2_b64 v[1:4], v31 offset0:40 offset1:48
	ds_read2_b64 v[10:13], v31 offset0:24 offset1:32
	;; [unrolled: 1-line block ×3, first 2 shown]
	ds_read_b64 v[5:6], v9
	ds_read_b64 v[26:27], v31 offset:704
	ds_read2_b64 v[18:21], v31 offset0:8 offset1:16
	ds_read2_b64 v[22:25], v31 offset0:56 offset1:64
	s_waitcnt lgkmcnt(0)
	v_sub_f32_e32 v7, v5, v3
	v_sub_f32_e32 v29, v6, v4
	;; [unrolled: 1-line block ×6, first 2 shown]
	v_fma_f32 v17, v5, 2.0, -v7
	v_fma_f32 v33, v6, 2.0, -v29
	v_fma_f32 v5, v10, 2.0, -v3
	v_fma_f32 v6, v11, 2.0, -v14
	v_add_f32_e32 v4, v29, v3
	v_sub_f32_e32 v3, v7, v14
	v_sub_f32_e32 v5, v17, v5
	;; [unrolled: 1-line block ×3, first 2 shown]
	s_barrier
	v_fma_f32 v10, v7, 2.0, -v3
	v_fma_f32 v11, v29, 2.0, -v4
	ds_write2_b64 v28, v[5:6], v[3:4] offset0:2 offset1:3
	v_fma_f32 v3, v17, 2.0, -v5
	v_fma_f32 v4, v33, 2.0, -v6
	v_sub_f32_e32 v7, v18, v22
	ds_write2_b64 v28, v[3:4], v[10:11] offset1:1
	v_fma_f32 v4, v13, 2.0, -v16
	v_sub_f32_e32 v13, v19, v23
	v_sub_f32_e32 v23, v21, v25
	;; [unrolled: 1-line block ×4, first 2 shown]
	v_fma_f32 v17, v21, 2.0, -v23
	v_fma_f32 v2, v2, 2.0, -v16
	;; [unrolled: 1-line block ×6, first 2 shown]
	v_sub_f32_e32 v7, v1, v26
	v_sub_f32_e32 v2, v17, v2
	;; [unrolled: 1-line block ×5, first 2 shown]
	v_add_f32_e32 v11, v13, v15
	v_fma_f32 v1, v1, 2.0, -v7
	v_fma_f32 v15, v17, 2.0, -v2
	v_add_f32_e32 v17, v23, v7
	v_lshlrev_b32_e32 v7, 5, v38
	v_fma_f32 v14, v20, 2.0, -v22
	v_or_b32_e32 v28, 16, v30
	v_fma_f32 v5, v5, 2.0, -v3
	v_fma_f32 v6, v6, 2.0, -v4
	;; [unrolled: 1-line block ×3, first 2 shown]
	v_add3_u32 v7, 0, v7, v8
	v_sub_f32_e32 v1, v14, v1
	v_sub_f32_e32 v16, v22, v16
	ds_write2_b64 v7, v[5:6], v[12:13] offset1:1
	ds_write2_b64 v7, v[3:4], v[10:11] offset0:2 offset1:3
	v_lshlrev_b32_e32 v3, 5, v28
	v_and_b32_e32 v26, 3, v0
	v_fma_f32 v14, v14, 2.0, -v1
	v_fma_f32 v18, v22, 2.0, -v16
	;; [unrolled: 1-line block ×3, first 2 shown]
	v_add3_u32 v3, 0, v3, v8
	v_lshlrev_b32_e32 v0, 4, v26
	ds_write2_b64 v3, v[14:15], v[18:19] offset1:1
	ds_write2_b64 v3, v[1:2], v[16:17] offset0:2 offset1:3
	s_waitcnt lgkmcnt(0)
	s_barrier
	global_load_dwordx4 v[4:7], v0, s[10:11]
	ds_read2_b64 v[10:13], v31 offset0:40 offset1:48
	ds_read2_b64 v[14:17], v31 offset0:56 offset1:64
	;; [unrolled: 1-line block ×4, first 2 shown]
	ds_read_b64 v[22:23], v31 offset:704
	ds_read_b64 v[24:25], v9
	s_waitcnt vmcnt(0) lgkmcnt(5)
	v_mul_f32_e32 v29, v5, v10
	s_waitcnt lgkmcnt(3)
	v_mul_f32_e32 v35, v7, v19
	v_mul_f32_e32 v36, v7, v18
	;; [unrolled: 1-line block ×6, first 2 shown]
	s_waitcnt lgkmcnt(1)
	v_mul_f32_e32 v45, v23, v7
	v_mul_f32_e32 v46, v22, v7
	;; [unrolled: 1-line block ×4, first 2 shown]
	v_fmac_f32_e32 v29, v4, v11
	v_fma_f32 v11, v4, v2, -v7
	v_mul_f32_e32 v2, v5, v2
	v_mul_f32_e32 v33, v5, v13
	;; [unrolled: 1-line block ×5, first 2 shown]
	v_fma_f32 v27, v4, v10, -v27
	v_fma_f32 v10, v6, v16, -v41
	v_fmac_f32_e32 v42, v6, v17
	v_fmac_f32_e32 v2, v4, v3
	s_waitcnt lgkmcnt(0)
	v_add_f32_e32 v3, v24, v11
	v_fma_f32 v12, v4, v12, -v33
	v_fmac_f32_e32 v34, v4, v13
	v_fma_f32 v13, v6, v18, -v35
	v_fmac_f32_e32 v36, v6, v19
	;; [unrolled: 2-line block ×5, first 2 shown]
	v_add_f32_e32 v4, v11, v10
	v_add_f32_e32 v6, v3, v10
	;; [unrolled: 1-line block ×3, first 2 shown]
	v_sub_f32_e32 v16, v2, v42
	v_add_f32_e32 v2, v2, v42
	v_lshrrev_b32_e32 v19, 2, v30
	v_fma_f32 v24, -0.5, v4, v24
	v_add_f32_e32 v7, v3, v42
	v_fmac_f32_e32 v25, -0.5, v2
	ds_read2_b64 v[2:5], v31 offset0:8 offset1:16
	v_mul_u32_u24_e32 v19, 12, v19
	v_or_b32_e32 v19, v19, v26
	v_sub_f32_e32 v17, v11, v10
	v_mov_b32_e32 v10, v24
	v_mov_b32_e32 v11, v25
	v_lshlrev_b32_e32 v19, 3, v19
	v_fmac_f32_e32 v10, 0x3f5db3d7, v16
	v_fmac_f32_e32 v11, 0xbf5db3d7, v17
	v_add3_u32 v19, 0, v19, v8
	v_fmac_f32_e32 v25, 0x3f5db3d7, v17
	v_lshrrev_b32_e32 v17, 2, v38
	s_waitcnt lgkmcnt(0)
	s_barrier
	ds_write2_b64 v19, v[6:7], v[10:11] offset1:4
	v_add_f32_e32 v10, v29, v36
	v_add_f32_e32 v11, v27, v13
	v_mul_u32_u24_e32 v17, 12, v17
	v_add_f32_e32 v6, v2, v27
	v_add_f32_e32 v7, v3, v29
	v_fma_f32 v2, -0.5, v11, v2
	v_fma_f32 v3, -0.5, v10, v3
	v_or_b32_e32 v17, v17, v26
	v_fmac_f32_e32 v24, 0xbf5db3d7, v16
	v_add_f32_e32 v6, v6, v13
	v_sub_f32_e32 v16, v29, v36
	v_sub_f32_e32 v13, v27, v13
	v_mov_b32_e32 v10, v2
	v_mov_b32_e32 v11, v3
	v_lshlrev_b32_e32 v17, 3, v17
	v_add_f32_e32 v7, v7, v36
	v_fmac_f32_e32 v10, 0x3f5db3d7, v16
	v_fmac_f32_e32 v11, 0xbf5db3d7, v13
	v_add3_u32 v17, 0, v17, v8
	ds_write_b64 v19, v[24:25] offset:64
	ds_write2_b64 v17, v[6:7], v[10:11] offset1:4
	v_add_f32_e32 v6, v12, v18
	v_add_f32_e32 v7, v4, v12
	v_fma_f32 v4, -0.5, v6, v4
	v_fmac_f32_e32 v2, 0xbf5db3d7, v16
	v_fmac_f32_e32 v3, 0x3f5db3d7, v13
	v_sub_f32_e32 v10, v34, v40
	v_mov_b32_e32 v6, v4
	v_fmac_f32_e32 v6, 0x3f5db3d7, v10
	v_fmac_f32_e32 v4, 0xbf5db3d7, v10
	v_add_f32_e32 v10, v7, v18
	v_add_f32_e32 v7, v5, v34
	ds_write_b64 v17, v[2:3] offset:64
	v_lshrrev_b32_e32 v3, 2, v28
	v_add_f32_e32 v11, v7, v40
	v_add_f32_e32 v7, v34, v40
	v_mul_u32_u24_e32 v3, 12, v3
	v_fmac_f32_e32 v5, -0.5, v7
	v_or_b32_e32 v3, v3, v26
	v_sub_f32_e32 v12, v12, v18
	v_mov_b32_e32 v7, v5
	v_add_f32_e32 v13, v14, v15
	v_lshlrev_b32_e32 v3, 3, v3
	v_fmac_f32_e32 v7, 0xbf5db3d7, v12
	v_fmac_f32_e32 v5, 0x3f5db3d7, v12
	v_add_f32_e32 v12, v0, v14
	v_fma_f32 v0, -0.5, v13, v0
	v_add3_u32 v13, 0, v3, v8
	ds_write2_b64 v13, v[10:11], v[6:7] offset1:4
	v_or_b32_e32 v10, 24, v30
	v_lshrrev_b32_e32 v10, 2, v10
	v_add_f32_e32 v7, v44, v46
	v_mul_u32_u24_e32 v10, 12, v10
	v_add_f32_e32 v3, v1, v44
	v_fmac_f32_e32 v1, -0.5, v7
	v_or_b32_e32 v10, v10, v26
	v_sub_f32_e32 v2, v44, v46
	v_mov_b32_e32 v6, v0
	v_sub_f32_e32 v11, v14, v15
	v_mov_b32_e32 v7, v1
	v_lshlrev_b32_e32 v10, 3, v10
	v_fmac_f32_e32 v6, 0x3f5db3d7, v2
	v_fmac_f32_e32 v0, 0xbf5db3d7, v2
	v_add_f32_e32 v2, v12, v15
	v_add_f32_e32 v3, v3, v46
	v_fmac_f32_e32 v7, 0xbf5db3d7, v11
	v_add3_u32 v8, 0, v10, v8
	v_fmac_f32_e32 v1, 0x3f5db3d7, v11
	ds_write_b64 v13, v[4:5] offset:64
	ds_write2_b64 v8, v[2:3], v[6:7] offset1:4
	ds_write_b64 v8, v[0:1] offset:64
	s_waitcnt lgkmcnt(0)
	s_barrier
	ds_read2_b64 v[18:21], v31 offset0:12 offset1:24
	ds_read_b64 v[33:34], v9
	ds_read_b64 v[35:36], v31 offset:672
	ds_read2_b64 v[26:29], v31 offset0:36 offset1:48
	ds_read2_b64 v[22:25], v31 offset0:60 offset1:72
                                        ; implicit-def: $vgpr11
                                        ; implicit-def: $vgpr15
	s_and_saveexec_b64 s[2:3], s[0:1]
	s_cbranch_execz .LBB0_12
; %bb.11:
	ds_read2_b64 v[0:3], v31 offset0:8 offset1:20
	ds_read2_b64 v[6:9], v31 offset0:32 offset1:44
	;; [unrolled: 1-line block ×4, first 2 shown]
	s_waitcnt lgkmcnt(3)
	v_mov_b32_e32 v5, v1
	v_mov_b32_e32 v4, v0
	s_waitcnt lgkmcnt(2)
	v_mov_b32_e32 v1, v9
	v_mov_b32_e32 v0, v8
.LBB0_12:
	s_or_b64 exec, exec, s[2:3]
	v_mul_u32_u24_e32 v8, 7, v30
	v_lshlrev_b32_e32 v51, 3, v8
	global_load_dwordx4 v[39:42], v51, s[10:11] offset:64
	global_load_dwordx4 v[43:46], v51, s[10:11] offset:80
	;; [unrolled: 1-line block ×3, first 2 shown]
	global_load_dwordx2 v[8:9], v51, s[10:11] offset:112
	v_cmp_gt_u32_e64 s[2:3], 12, v38
	s_waitcnt vmcnt(0) lgkmcnt(0)
	s_barrier
	v_mul_f32_e32 v51, v40, v19
	v_mul_f32_e32 v40, v40, v18
	;; [unrolled: 1-line block ×14, first 2 shown]
	v_fma_f32 v18, v39, v18, -v51
	v_fmac_f32_e32 v40, v39, v19
	v_fma_f32 v19, v41, v20, -v52
	v_fmac_f32_e32 v42, v41, v21
	v_fma_f32 v20, v43, v26, -v53
	v_fma_f32 v21, v45, v28, -v54
	v_fmac_f32_e32 v46, v45, v29
	v_fma_f32 v22, v47, v22, -v55
	v_fmac_f32_e32 v48, v47, v23
	;; [unrolled: 2-line block ×4, first 2 shown]
	v_fmac_f32_e32 v9, v8, v36
	v_sub_f32_e32 v8, v33, v21
	v_sub_f32_e32 v21, v34, v46
	;; [unrolled: 1-line block ×8, first 2 shown]
	v_fma_f32 v18, v18, 2.0, -v22
	v_fma_f32 v20, v20, 2.0, -v24
	v_sub_f32_e32 v35, v8, v25
	v_add_f32_e32 v36, v21, v23
	v_fma_f32 v27, v33, 2.0, -v8
	v_fma_f32 v28, v34, 2.0, -v21
	;; [unrolled: 1-line block ×6, first 2 shown]
	v_sub_f32_e32 v39, v22, v9
	v_add_f32_e32 v40, v26, v24
	v_fma_f32 v41, v8, 2.0, -v35
	v_fma_f32 v42, v21, 2.0, -v36
	v_sub_f32_e32 v21, v18, v20
	v_sub_f32_e32 v24, v27, v19
	;; [unrolled: 1-line block ×4, first 2 shown]
	v_fma_f32 v29, v22, 2.0, -v39
	v_fma_f32 v34, v26, 2.0, -v40
	;; [unrolled: 1-line block ×3, first 2 shown]
	v_mov_b32_e32 v18, v41
	v_mov_b32_e32 v19, v42
	;; [unrolled: 1-line block ×4, first 2 shown]
	v_fma_f32 v26, v27, 2.0, -v24
	v_fma_f32 v27, v28, 2.0, -v25
	;; [unrolled: 1-line block ×3, first 2 shown]
	v_fmac_f32_e32 v18, 0xbf3504f3, v29
	v_fmac_f32_e32 v19, 0xbf3504f3, v34
	;; [unrolled: 1-line block ×4, first 2 shown]
	v_sub_f32_e32 v22, v26, v22
	v_sub_f32_e32 v23, v27, v23
	v_fmac_f32_e32 v18, 0xbf3504f3, v34
	v_fmac_f32_e32 v19, 0x3f3504f3, v29
	v_sub_f32_e32 v20, v24, v20
	v_add_f32_e32 v21, v25, v21
	v_fmac_f32_e32 v8, 0xbf3504f3, v40
	v_fmac_f32_e32 v9, 0x3f3504f3, v39
	v_fma_f32 v26, v26, 2.0, -v22
	v_fma_f32 v27, v27, 2.0, -v23
	;; [unrolled: 1-line block ×8, first 2 shown]
	ds_write2_b64 v31, v[26:27], v[33:34] offset1:12
	ds_write2_b64 v31, v[24:25], v[28:29] offset0:24 offset1:36
	ds_write2_b64 v31, v[22:23], v[18:19] offset0:48 offset1:60
	;; [unrolled: 1-line block ×3, first 2 shown]
	s_and_saveexec_b64 s[8:9], s[0:1]
	s_cbranch_execz .LBB0_14
; %bb.13:
	v_add_u32_e32 v8, -4, v30
	v_cndmask_b32_e64 v8, v8, v38, s[2:3]
	v_mul_i32_i24_e32 v8, 7, v8
	v_mov_b32_e32 v9, 0
	v_lshlrev_b64 v[8:9], 3, v[8:9]
	v_mov_b32_e32 v18, s11
	v_add_co_u32_e64 v8, s[0:1], s10, v8
	v_addc_co_u32_e64 v9, s[0:1], v18, v9, s[0:1]
	global_load_dwordx4 v[18:21], v[8:9], off offset:64
	global_load_dwordx4 v[22:25], v[8:9], off offset:96
	global_load_dwordx4 v[26:29], v[8:9], off offset:80
	global_load_dwordx2 v[33:34], v[8:9], off offset:112
	s_waitcnt vmcnt(3)
	v_mul_f32_e32 v8, v7, v21
	s_waitcnt vmcnt(2)
	v_mul_f32_e32 v9, v15, v25
	;; [unrolled: 2-line block ×3, first 2 shown]
	v_mul_f32_e32 v36, v3, v19
	v_mul_f32_e32 v38, v13, v23
	v_mul_f32_e32 v39, v0, v27
	s_waitcnt vmcnt(0)
	v_mul_f32_e32 v40, v16, v34
	v_mul_f32_e32 v27, v1, v27
	;; [unrolled: 1-line block ×7, first 2 shown]
	v_fma_f32 v6, v6, v20, -v8
	v_fma_f32 v8, v14, v24, -v9
	v_fmac_f32_e32 v35, v11, v28
	v_mul_f32_e32 v29, v11, v29
	v_fmac_f32_e32 v39, v1, v26
	v_fma_f32 v0, v0, v26, -v27
	v_fma_f32 v1, v16, v33, -v34
	v_fmac_f32_e32 v19, v3, v18
	v_fmac_f32_e32 v23, v13, v22
	;; [unrolled: 1-line block ×4, first 2 shown]
	v_sub_f32_e32 v7, v6, v8
	v_sub_f32_e32 v8, v5, v35
	v_fma_f32 v2, v2, v18, -v36
	v_fma_f32 v9, v12, v22, -v38
	v_fmac_f32_e32 v40, v17, v33
	v_fma_f32 v3, v10, v28, -v29
	v_sub_f32_e32 v1, v0, v1
	v_sub_f32_e32 v11, v19, v23
	;; [unrolled: 1-line block ×3, first 2 shown]
	v_add_f32_e32 v13, v8, v7
	v_sub_f32_e32 v9, v2, v9
	v_sub_f32_e32 v10, v39, v40
	;; [unrolled: 1-line block ×3, first 2 shown]
	v_add_f32_e32 v15, v11, v1
	v_fma_f32 v17, v5, 2.0, -v8
	v_fma_f32 v5, v21, 2.0, -v12
	;; [unrolled: 1-line block ×3, first 2 shown]
	v_sub_f32_e32 v14, v9, v10
	v_sub_f32_e32 v16, v3, v12
	v_fma_f32 v18, v4, 2.0, -v3
	v_fma_f32 v4, v6, 2.0, -v7
	;; [unrolled: 1-line block ×3, first 2 shown]
	v_sub_f32_e32 v10, v17, v5
	v_fma_f32 v22, v11, 2.0, -v15
	v_mov_b32_e32 v5, v8
	v_fma_f32 v12, v2, 2.0, -v9
	v_fma_f32 v2, v0, 2.0, -v1
	;; [unrolled: 1-line block ×3, first 2 shown]
	v_mov_b32_e32 v0, v16
	v_fma_f32 v21, v9, 2.0, -v14
	v_fma_f32 v23, v3, 2.0, -v16
	v_fmac_f32_e32 v5, 0xbf3504f3, v22
	v_mov_b32_e32 v1, v13
	v_sub_f32_e32 v19, v12, v2
	v_sub_f32_e32 v20, v18, v4
	;; [unrolled: 1-line block ×3, first 2 shown]
	v_fmac_f32_e32 v0, 0x3f3504f3, v14
	v_mov_b32_e32 v4, v23
	v_fmac_f32_e32 v5, 0x3f3504f3, v21
	v_fmac_f32_e32 v1, 0x3f3504f3, v15
	v_fma_f32 v17, v17, 2.0, -v10
	v_fma_f32 v9, v6, 2.0, -v7
	;; [unrolled: 1-line block ×3, first 2 shown]
	v_fmac_f32_e32 v0, 0xbf3504f3, v15
	v_fmac_f32_e32 v4, 0xbf3504f3, v21
	v_fma_f32 v15, v8, 2.0, -v5
	v_fma_f32 v8, v12, 2.0, -v19
	v_fmac_f32_e32 v1, 0x3f3504f3, v14
	v_sub_f32_e32 v9, v17, v9
	v_fmac_f32_e32 v4, 0xbf3504f3, v22
	v_sub_f32_e32 v8, v18, v8
	v_add_f32_e32 v3, v10, v19
	v_sub_f32_e32 v2, v20, v7
	v_fma_f32 v11, v13, 2.0, -v1
	v_fma_f32 v13, v17, 2.0, -v9
	;; [unrolled: 1-line block ×7, first 2 shown]
	ds_write2_b64 v31, v[12:13], v[14:15] offset0:8 offset1:20
	ds_write2_b64 v31, v[6:7], v[10:11] offset0:32 offset1:44
	;; [unrolled: 1-line block ×4, first 2 shown]
.LBB0_14:
	s_or_b64 exec, exec, s[8:9]
	s_waitcnt lgkmcnt(0)
	s_barrier
	s_and_saveexec_b64 s[0:1], vcc
	s_cbranch_execz .LBB0_16
; %bb.15:
	v_mad_u64_u32 v[4:5], s[0:1], s6, v32, 0
	s_load_dwordx2 s[0:1], s[4:5], 0x58
	v_mov_b32_e32 v31, 0
	v_mov_b32_e32 v0, v5
	v_mad_u64_u32 v[5:6], s[2:3], s7, v32, v[0:1]
	v_lshl_add_u32 v6, v30, 3, v37
	ds_read2_b64 v[0:3], v6 offset1:8
	v_lshlrev_b64 v[4:5], 3, v[4:5]
	s_waitcnt lgkmcnt(0)
	v_mov_b32_e32 v7, s1
	v_add_co_u32_e32 v8, vcc, s0, v4
	v_addc_co_u32_e32 v7, vcc, v7, v5, vcc
	v_lshlrev_b64 v[4:5], 3, v[30:31]
	v_add_co_u32_e32 v4, vcc, v8, v4
	v_addc_co_u32_e32 v5, vcc, v7, v5, vcc
	global_store_dwordx2 v[4:5], v[0:1], off
	v_add_u32_e32 v0, 8, v30
	v_mov_b32_e32 v1, v31
	v_lshlrev_b64 v[0:1], 3, v[0:1]
	v_add_u32_e32 v4, 16, v30
	v_add_co_u32_e32 v0, vcc, v8, v0
	v_addc_co_u32_e32 v1, vcc, v7, v1, vcc
	global_store_dwordx2 v[0:1], v[2:3], off
	v_mov_b32_e32 v5, v31
	ds_read2_b64 v[0:3], v6 offset0:16 offset1:24
	v_lshlrev_b64 v[4:5], 3, v[4:5]
	v_add_co_u32_e32 v4, vcc, v8, v4
	v_addc_co_u32_e32 v5, vcc, v7, v5, vcc
	s_waitcnt lgkmcnt(0)
	global_store_dwordx2 v[4:5], v[0:1], off
	v_add_u32_e32 v0, 24, v30
	v_mov_b32_e32 v1, v31
	v_lshlrev_b64 v[0:1], 3, v[0:1]
	v_add_u32_e32 v4, 32, v30
	v_add_co_u32_e32 v0, vcc, v8, v0
	v_addc_co_u32_e32 v1, vcc, v7, v1, vcc
	global_store_dwordx2 v[0:1], v[2:3], off
	v_mov_b32_e32 v5, v31
	ds_read2_b64 v[0:3], v6 offset0:32 offset1:40
	v_lshlrev_b64 v[4:5], 3, v[4:5]
	v_add_co_u32_e32 v4, vcc, v8, v4
	v_addc_co_u32_e32 v5, vcc, v7, v5, vcc
	s_waitcnt lgkmcnt(0)
	;; [unrolled: 14-line block ×4, first 2 shown]
	global_store_dwordx2 v[4:5], v[0:1], off
	v_add_u32_e32 v0, 0x48, v30
	v_mov_b32_e32 v1, v31
	v_lshlrev_b64 v[0:1], 3, v[0:1]
	v_add_u32_e32 v4, 0x50, v30
	v_add_co_u32_e32 v0, vcc, v8, v0
	v_addc_co_u32_e32 v1, vcc, v7, v1, vcc
	global_store_dwordx2 v[0:1], v[2:3], off
	v_mov_b32_e32 v5, v31
	ds_read2_b64 v[0:3], v6 offset0:80 offset1:88
	v_lshlrev_b64 v[4:5], 3, v[4:5]
	v_add_u32_e32 v30, 0x58, v30
	v_add_co_u32_e32 v4, vcc, v8, v4
	v_addc_co_u32_e32 v5, vcc, v7, v5, vcc
	s_waitcnt lgkmcnt(0)
	global_store_dwordx2 v[4:5], v[0:1], off
	v_lshlrev_b64 v[0:1], 3, v[30:31]
	v_add_co_u32_e32 v0, vcc, v8, v0
	v_addc_co_u32_e32 v1, vcc, v7, v1, vcc
	global_store_dwordx2 v[0:1], v[2:3], off
.LBB0_16:
	s_endpgm
	.section	.rodata,"a",@progbits
	.p2align	6, 0x0
	.amdhsa_kernel fft_rtc_fwd_len96_factors_4_3_8_wgs_128_tpt_8_dim1_sp_op_CI_CI_unitstride_sbrr_C2R_dirReg
		.amdhsa_group_segment_fixed_size 0
		.amdhsa_private_segment_fixed_size 0
		.amdhsa_kernarg_size 96
		.amdhsa_user_sgpr_count 6
		.amdhsa_user_sgpr_private_segment_buffer 1
		.amdhsa_user_sgpr_dispatch_ptr 0
		.amdhsa_user_sgpr_queue_ptr 0
		.amdhsa_user_sgpr_kernarg_segment_ptr 1
		.amdhsa_user_sgpr_dispatch_id 0
		.amdhsa_user_sgpr_flat_scratch_init 0
		.amdhsa_user_sgpr_private_segment_size 0
		.amdhsa_uses_dynamic_stack 0
		.amdhsa_system_sgpr_private_segment_wavefront_offset 0
		.amdhsa_system_sgpr_workgroup_id_x 1
		.amdhsa_system_sgpr_workgroup_id_y 0
		.amdhsa_system_sgpr_workgroup_id_z 0
		.amdhsa_system_sgpr_workgroup_info 0
		.amdhsa_system_vgpr_workitem_id 0
		.amdhsa_next_free_vgpr 58
		.amdhsa_next_free_sgpr 14
		.amdhsa_reserve_vcc 1
		.amdhsa_reserve_flat_scratch 0
		.amdhsa_float_round_mode_32 0
		.amdhsa_float_round_mode_16_64 0
		.amdhsa_float_denorm_mode_32 3
		.amdhsa_float_denorm_mode_16_64 3
		.amdhsa_dx10_clamp 1
		.amdhsa_ieee_mode 1
		.amdhsa_fp16_overflow 0
		.amdhsa_exception_fp_ieee_invalid_op 0
		.amdhsa_exception_fp_denorm_src 0
		.amdhsa_exception_fp_ieee_div_zero 0
		.amdhsa_exception_fp_ieee_overflow 0
		.amdhsa_exception_fp_ieee_underflow 0
		.amdhsa_exception_fp_ieee_inexact 0
		.amdhsa_exception_int_div_zero 0
	.end_amdhsa_kernel
	.text
.Lfunc_end0:
	.size	fft_rtc_fwd_len96_factors_4_3_8_wgs_128_tpt_8_dim1_sp_op_CI_CI_unitstride_sbrr_C2R_dirReg, .Lfunc_end0-fft_rtc_fwd_len96_factors_4_3_8_wgs_128_tpt_8_dim1_sp_op_CI_CI_unitstride_sbrr_C2R_dirReg
                                        ; -- End function
	.section	.AMDGPU.csdata,"",@progbits
; Kernel info:
; codeLenInByte = 4420
; NumSgprs: 18
; NumVgprs: 58
; ScratchSize: 0
; MemoryBound: 0
; FloatMode: 240
; IeeeMode: 1
; LDSByteSize: 0 bytes/workgroup (compile time only)
; SGPRBlocks: 2
; VGPRBlocks: 14
; NumSGPRsForWavesPerEU: 18
; NumVGPRsForWavesPerEU: 58
; Occupancy: 4
; WaveLimiterHint : 1
; COMPUTE_PGM_RSRC2:SCRATCH_EN: 0
; COMPUTE_PGM_RSRC2:USER_SGPR: 6
; COMPUTE_PGM_RSRC2:TRAP_HANDLER: 0
; COMPUTE_PGM_RSRC2:TGID_X_EN: 1
; COMPUTE_PGM_RSRC2:TGID_Y_EN: 0
; COMPUTE_PGM_RSRC2:TGID_Z_EN: 0
; COMPUTE_PGM_RSRC2:TIDIG_COMP_CNT: 0
	.type	__hip_cuid_1cf6a41b9f3a640f,@object ; @__hip_cuid_1cf6a41b9f3a640f
	.section	.bss,"aw",@nobits
	.globl	__hip_cuid_1cf6a41b9f3a640f
__hip_cuid_1cf6a41b9f3a640f:
	.byte	0                               ; 0x0
	.size	__hip_cuid_1cf6a41b9f3a640f, 1

	.ident	"AMD clang version 19.0.0git (https://github.com/RadeonOpenCompute/llvm-project roc-6.4.0 25133 c7fe45cf4b819c5991fe208aaa96edf142730f1d)"
	.section	".note.GNU-stack","",@progbits
	.addrsig
	.addrsig_sym __hip_cuid_1cf6a41b9f3a640f
	.amdgpu_metadata
---
amdhsa.kernels:
  - .args:
      - .actual_access:  read_only
        .address_space:  global
        .offset:         0
        .size:           8
        .value_kind:     global_buffer
      - .actual_access:  read_only
        .address_space:  global
        .offset:         8
        .size:           8
        .value_kind:     global_buffer
      - .actual_access:  read_only
        .address_space:  global
        .offset:         16
        .size:           8
        .value_kind:     global_buffer
      - .actual_access:  read_only
        .address_space:  global
        .offset:         24
        .size:           8
        .value_kind:     global_buffer
      - .offset:         32
        .size:           8
        .value_kind:     by_value
      - .actual_access:  read_only
        .address_space:  global
        .offset:         40
        .size:           8
        .value_kind:     global_buffer
      - .actual_access:  read_only
        .address_space:  global
        .offset:         48
        .size:           8
        .value_kind:     global_buffer
      - .offset:         56
        .size:           4
        .value_kind:     by_value
      - .actual_access:  read_only
        .address_space:  global
        .offset:         64
        .size:           8
        .value_kind:     global_buffer
      - .actual_access:  read_only
        .address_space:  global
        .offset:         72
        .size:           8
        .value_kind:     global_buffer
      - .actual_access:  read_only
        .address_space:  global
        .offset:         80
        .size:           8
        .value_kind:     global_buffer
      - .actual_access:  write_only
        .address_space:  global
        .offset:         88
        .size:           8
        .value_kind:     global_buffer
    .group_segment_fixed_size: 0
    .kernarg_segment_align: 8
    .kernarg_segment_size: 96
    .language:       OpenCL C
    .language_version:
      - 2
      - 0
    .max_flat_workgroup_size: 128
    .name:           fft_rtc_fwd_len96_factors_4_3_8_wgs_128_tpt_8_dim1_sp_op_CI_CI_unitstride_sbrr_C2R_dirReg
    .private_segment_fixed_size: 0
    .sgpr_count:     18
    .sgpr_spill_count: 0
    .symbol:         fft_rtc_fwd_len96_factors_4_3_8_wgs_128_tpt_8_dim1_sp_op_CI_CI_unitstride_sbrr_C2R_dirReg.kd
    .uniform_work_group_size: 1
    .uses_dynamic_stack: false
    .vgpr_count:     58
    .vgpr_spill_count: 0
    .wavefront_size: 64
amdhsa.target:   amdgcn-amd-amdhsa--gfx906
amdhsa.version:
  - 1
  - 2
...

	.end_amdgpu_metadata
